;; amdgpu-corpus repo=ROCm/rocFFT kind=compiled arch=gfx906 opt=O3
	.text
	.amdgcn_target "amdgcn-amd-amdhsa--gfx906"
	.amdhsa_code_object_version 6
	.protected	fft_rtc_back_len770_factors_11_10_7_wgs_220_tpt_110_dp_op_CI_CI_unitstride_sbrr_R2C_dirReg ; -- Begin function fft_rtc_back_len770_factors_11_10_7_wgs_220_tpt_110_dp_op_CI_CI_unitstride_sbrr_R2C_dirReg
	.globl	fft_rtc_back_len770_factors_11_10_7_wgs_220_tpt_110_dp_op_CI_CI_unitstride_sbrr_R2C_dirReg
	.p2align	8
	.type	fft_rtc_back_len770_factors_11_10_7_wgs_220_tpt_110_dp_op_CI_CI_unitstride_sbrr_R2C_dirReg,@function
fft_rtc_back_len770_factors_11_10_7_wgs_220_tpt_110_dp_op_CI_CI_unitstride_sbrr_R2C_dirReg: ; @fft_rtc_back_len770_factors_11_10_7_wgs_220_tpt_110_dp_op_CI_CI_unitstride_sbrr_R2C_dirReg
; %bb.0:
	s_load_dwordx4 s[8:11], s[4:5], 0x58
	s_load_dwordx4 s[12:15], s[4:5], 0x0
	;; [unrolled: 1-line block ×3, first 2 shown]
	v_mul_u32_u24_e32 v1, 0x254, v0
	v_lshrrev_b32_e32 v7, 16, v1
	v_mov_b32_e32 v3, 0
	s_waitcnt lgkmcnt(0)
	v_cmp_lt_u64_e64 s[0:1], s[14:15], 2
	v_mov_b32_e32 v1, 0
	v_lshl_add_u32 v5, s6, 1, v7
	v_mov_b32_e32 v6, v3
	s_and_b64 vcc, exec, s[0:1]
	v_mov_b32_e32 v2, 0
	s_cbranch_vccnz .LBB0_8
; %bb.1:
	s_load_dwordx2 s[0:1], s[4:5], 0x10
	s_add_u32 s2, s18, 8
	s_addc_u32 s3, s19, 0
	s_add_u32 s6, s16, 8
	v_mov_b32_e32 v1, 0
	s_addc_u32 s7, s17, 0
	v_mov_b32_e32 v2, 0
	s_waitcnt lgkmcnt(0)
	s_add_u32 s20, s0, 8
	v_mov_b32_e32 v45, v2
	s_addc_u32 s21, s1, 0
	s_mov_b64 s[22:23], 1
	v_mov_b32_e32 v44, v1
.LBB0_2:                                ; =>This Inner Loop Header: Depth=1
	s_load_dwordx2 s[24:25], s[20:21], 0x0
                                        ; implicit-def: $vgpr46_vgpr47
	s_waitcnt lgkmcnt(0)
	v_or_b32_e32 v4, s25, v6
	v_cmp_ne_u64_e32 vcc, 0, v[3:4]
	s_and_saveexec_b64 s[0:1], vcc
	s_xor_b64 s[26:27], exec, s[0:1]
	s_cbranch_execz .LBB0_4
; %bb.3:                                ;   in Loop: Header=BB0_2 Depth=1
	v_cvt_f32_u32_e32 v4, s24
	v_cvt_f32_u32_e32 v8, s25
	s_sub_u32 s0, 0, s24
	s_subb_u32 s1, 0, s25
	v_mac_f32_e32 v4, 0x4f800000, v8
	v_rcp_f32_e32 v4, v4
	v_mul_f32_e32 v4, 0x5f7ffffc, v4
	v_mul_f32_e32 v8, 0x2f800000, v4
	v_trunc_f32_e32 v8, v8
	v_mac_f32_e32 v4, 0xcf800000, v8
	v_cvt_u32_f32_e32 v8, v8
	v_cvt_u32_f32_e32 v4, v4
	v_mul_lo_u32 v9, s0, v8
	v_mul_hi_u32 v10, s0, v4
	v_mul_lo_u32 v12, s1, v4
	v_mul_lo_u32 v11, s0, v4
	v_add_u32_e32 v9, v10, v9
	v_add_u32_e32 v9, v9, v12
	v_mul_hi_u32 v10, v4, v11
	v_mul_lo_u32 v12, v4, v9
	v_mul_hi_u32 v14, v4, v9
	v_mul_hi_u32 v13, v8, v11
	v_mul_lo_u32 v11, v8, v11
	v_mul_hi_u32 v15, v8, v9
	v_add_co_u32_e32 v10, vcc, v10, v12
	v_addc_co_u32_e32 v12, vcc, 0, v14, vcc
	v_mul_lo_u32 v9, v8, v9
	v_add_co_u32_e32 v10, vcc, v10, v11
	v_addc_co_u32_e32 v10, vcc, v12, v13, vcc
	v_addc_co_u32_e32 v11, vcc, 0, v15, vcc
	v_add_co_u32_e32 v9, vcc, v10, v9
	v_addc_co_u32_e32 v10, vcc, 0, v11, vcc
	v_add_co_u32_e32 v4, vcc, v4, v9
	v_addc_co_u32_e32 v8, vcc, v8, v10, vcc
	v_mul_lo_u32 v9, s0, v8
	v_mul_hi_u32 v10, s0, v4
	v_mul_lo_u32 v11, s1, v4
	v_mul_lo_u32 v12, s0, v4
	v_add_u32_e32 v9, v10, v9
	v_add_u32_e32 v9, v9, v11
	v_mul_lo_u32 v13, v4, v9
	v_mul_hi_u32 v14, v4, v12
	v_mul_hi_u32 v15, v4, v9
	;; [unrolled: 1-line block ×3, first 2 shown]
	v_mul_lo_u32 v12, v8, v12
	v_mul_hi_u32 v10, v8, v9
	v_add_co_u32_e32 v13, vcc, v14, v13
	v_addc_co_u32_e32 v14, vcc, 0, v15, vcc
	v_mul_lo_u32 v9, v8, v9
	v_add_co_u32_e32 v12, vcc, v13, v12
	v_addc_co_u32_e32 v11, vcc, v14, v11, vcc
	v_addc_co_u32_e32 v10, vcc, 0, v10, vcc
	v_add_co_u32_e32 v9, vcc, v11, v9
	v_addc_co_u32_e32 v10, vcc, 0, v10, vcc
	v_add_co_u32_e32 v4, vcc, v4, v9
	v_addc_co_u32_e32 v10, vcc, v8, v10, vcc
	v_mad_u64_u32 v[8:9], s[0:1], v5, v10, 0
	v_mul_hi_u32 v11, v5, v4
	v_add_co_u32_e32 v12, vcc, v11, v8
	v_addc_co_u32_e32 v13, vcc, 0, v9, vcc
	v_mad_u64_u32 v[8:9], s[0:1], v6, v4, 0
	v_mad_u64_u32 v[10:11], s[0:1], v6, v10, 0
	v_add_co_u32_e32 v4, vcc, v12, v8
	v_addc_co_u32_e32 v4, vcc, v13, v9, vcc
	v_addc_co_u32_e32 v8, vcc, 0, v11, vcc
	v_add_co_u32_e32 v4, vcc, v4, v10
	v_addc_co_u32_e32 v10, vcc, 0, v8, vcc
	v_mul_lo_u32 v11, s25, v4
	v_mul_lo_u32 v12, s24, v10
	v_mad_u64_u32 v[8:9], s[0:1], s24, v4, 0
	v_add3_u32 v9, v9, v12, v11
	v_sub_u32_e32 v11, v6, v9
	v_mov_b32_e32 v12, s25
	v_sub_co_u32_e32 v8, vcc, v5, v8
	v_subb_co_u32_e64 v11, s[0:1], v11, v12, vcc
	v_subrev_co_u32_e64 v12, s[0:1], s24, v8
	v_subbrev_co_u32_e64 v11, s[0:1], 0, v11, s[0:1]
	v_cmp_le_u32_e64 s[0:1], s25, v11
	v_cndmask_b32_e64 v13, 0, -1, s[0:1]
	v_cmp_le_u32_e64 s[0:1], s24, v12
	v_cndmask_b32_e64 v12, 0, -1, s[0:1]
	v_cmp_eq_u32_e64 s[0:1], s25, v11
	v_cndmask_b32_e64 v11, v13, v12, s[0:1]
	v_add_co_u32_e64 v12, s[0:1], 2, v4
	v_addc_co_u32_e64 v13, s[0:1], 0, v10, s[0:1]
	v_add_co_u32_e64 v14, s[0:1], 1, v4
	v_addc_co_u32_e64 v15, s[0:1], 0, v10, s[0:1]
	v_subb_co_u32_e32 v9, vcc, v6, v9, vcc
	v_cmp_ne_u32_e64 s[0:1], 0, v11
	v_cmp_le_u32_e32 vcc, s25, v9
	v_cndmask_b32_e64 v11, v15, v13, s[0:1]
	v_cndmask_b32_e64 v13, 0, -1, vcc
	v_cmp_le_u32_e32 vcc, s24, v8
	v_cndmask_b32_e64 v8, 0, -1, vcc
	v_cmp_eq_u32_e32 vcc, s25, v9
	v_cndmask_b32_e32 v8, v13, v8, vcc
	v_cmp_ne_u32_e32 vcc, 0, v8
	v_cndmask_b32_e64 v8, v14, v12, s[0:1]
	v_cndmask_b32_e32 v47, v10, v11, vcc
	v_cndmask_b32_e32 v46, v4, v8, vcc
.LBB0_4:                                ;   in Loop: Header=BB0_2 Depth=1
	s_andn2_saveexec_b64 s[0:1], s[26:27]
	s_cbranch_execz .LBB0_6
; %bb.5:                                ;   in Loop: Header=BB0_2 Depth=1
	v_cvt_f32_u32_e32 v4, s24
	s_sub_i32 s26, 0, s24
	v_mov_b32_e32 v47, v3
	v_rcp_iflag_f32_e32 v4, v4
	v_mul_f32_e32 v4, 0x4f7ffffe, v4
	v_cvt_u32_f32_e32 v4, v4
	v_mul_lo_u32 v8, s26, v4
	v_mul_hi_u32 v8, v4, v8
	v_add_u32_e32 v4, v4, v8
	v_mul_hi_u32 v4, v5, v4
	v_mul_lo_u32 v8, v4, s24
	v_add_u32_e32 v9, 1, v4
	v_sub_u32_e32 v8, v5, v8
	v_subrev_u32_e32 v10, s24, v8
	v_cmp_le_u32_e32 vcc, s24, v8
	v_cndmask_b32_e32 v8, v8, v10, vcc
	v_cndmask_b32_e32 v4, v4, v9, vcc
	v_add_u32_e32 v9, 1, v4
	v_cmp_le_u32_e32 vcc, s24, v8
	v_cndmask_b32_e32 v46, v4, v9, vcc
.LBB0_6:                                ;   in Loop: Header=BB0_2 Depth=1
	s_or_b64 exec, exec, s[0:1]
	v_mul_lo_u32 v4, v47, s24
	v_mul_lo_u32 v10, v46, s25
	v_mad_u64_u32 v[8:9], s[0:1], v46, s24, 0
	s_load_dwordx2 s[0:1], s[6:7], 0x0
	s_load_dwordx2 s[24:25], s[2:3], 0x0
	v_add3_u32 v4, v9, v10, v4
	v_sub_co_u32_e32 v5, vcc, v5, v8
	v_subb_co_u32_e32 v4, vcc, v6, v4, vcc
	s_waitcnt lgkmcnt(0)
	v_mul_lo_u32 v6, s0, v4
	v_mul_lo_u32 v8, s1, v5
	v_mad_u64_u32 v[1:2], s[0:1], s0, v5, v[1:2]
	v_mul_lo_u32 v4, s24, v4
	v_mul_lo_u32 v9, s25, v5
	v_mad_u64_u32 v[44:45], s[0:1], s24, v5, v[44:45]
	s_add_u32 s22, s22, 1
	s_addc_u32 s23, s23, 0
	s_add_u32 s2, s2, 8
	v_add3_u32 v45, v9, v45, v4
	s_addc_u32 s3, s3, 0
	v_mov_b32_e32 v4, s14
	s_add_u32 s6, s6, 8
	v_mov_b32_e32 v5, s15
	s_addc_u32 s7, s7, 0
	v_cmp_ge_u64_e32 vcc, s[22:23], v[4:5]
	s_add_u32 s20, s20, 8
	v_add3_u32 v2, v8, v2, v6
	s_addc_u32 s21, s21, 0
	s_cbranch_vccnz .LBB0_9
; %bb.7:                                ;   in Loop: Header=BB0_2 Depth=1
	v_mov_b32_e32 v5, v46
	v_mov_b32_e32 v6, v47
	s_branch .LBB0_2
.LBB0_8:
	v_mov_b32_e32 v45, v2
	v_mov_b32_e32 v47, v6
	;; [unrolled: 1-line block ×4, first 2 shown]
.LBB0_9:
	s_load_dwordx2 s[2:3], s[4:5], 0x28
	s_lshl_b64 s[6:7], s[14:15], 3
	s_add_u32 s4, s18, s6
	v_and_b32_e32 v3, 1, v7
	s_addc_u32 s5, s19, s7
	s_waitcnt lgkmcnt(0)
	v_cmp_gt_u64_e64 s[0:1], s[2:3], v[46:47]
	v_cmp_le_u64_e64 s[2:3], s[2:3], v[46:47]
	v_cmp_eq_u32_e32 vcc, 1, v3
	v_mov_b32_e32 v3, 0x303
                                        ; implicit-def: $vgpr48
	s_and_saveexec_b64 s[14:15], s[2:3]
	s_xor_b64 s[2:3], exec, s[14:15]
; %bb.10:
	s_mov_b32 s14, 0x253c826
	v_mul_hi_u32 v1, v0, s14
	v_mul_u32_u24_e32 v1, 0x6e, v1
	v_sub_u32_e32 v48, v0, v1
                                        ; implicit-def: $vgpr0
                                        ; implicit-def: $vgpr1_vgpr2
; %bb.11:
	s_or_saveexec_b64 s[2:3], s[2:3]
	v_cndmask_b32_e32 v3, 0, v3, vcc
	v_lshlrev_b32_e32 v101, 4, v3
	s_xor_b64 exec, exec, s[2:3]
	s_cbranch_execz .LBB0_13
; %bb.12:
	s_add_u32 s6, s16, s6
	s_addc_u32 s7, s17, s7
	s_load_dwordx2 s[6:7], s[6:7], 0x0
	s_mov_b32 s14, 0x253c826
	v_mul_hi_u32 v5, v0, s14
	s_waitcnt lgkmcnt(0)
	v_mul_lo_u32 v6, s7, v46
	v_mul_lo_u32 v7, s6, v47
	v_mad_u64_u32 v[3:4], s[6:7], s6, v46, 0
	v_mul_u32_u24_e32 v5, 0x6e, v5
	v_sub_u32_e32 v48, v0, v5
	v_add3_u32 v4, v4, v7, v6
	v_lshlrev_b64 v[3:4], 4, v[3:4]
	v_mov_b32_e32 v0, s9
	v_add_co_u32_e32 v3, vcc, s8, v3
	v_addc_co_u32_e32 v4, vcc, v0, v4, vcc
	v_lshlrev_b64 v[0:1], 4, v[1:2]
	v_lshlrev_b32_e32 v32, 4, v48
	v_add_co_u32_e32 v0, vcc, v3, v0
	v_addc_co_u32_e32 v1, vcc, v4, v1, vcc
	v_add_co_u32_e32 v16, vcc, v0, v32
	v_addc_co_u32_e32 v17, vcc, 0, v1, vcc
	s_movk_i32 s6, 0x1000
	v_add_co_u32_e32 v28, vcc, s6, v16
	v_addc_co_u32_e32 v29, vcc, 0, v17, vcc
	v_add_co_u32_e32 v30, vcc, 0x2000, v16
	global_load_dwordx4 v[0:3], v[16:17], off
	global_load_dwordx4 v[4:7], v[16:17], off offset:1760
	global_load_dwordx4 v[8:11], v[16:17], off offset:3520
	;; [unrolled: 1-line block ×3, first 2 shown]
	v_addc_co_u32_e32 v31, vcc, 0, v17, vcc
	global_load_dwordx4 v[16:19], v[28:29], off offset:2944
	global_load_dwordx4 v[20:23], v[30:31], off offset:608
	;; [unrolled: 1-line block ×3, first 2 shown]
	v_add3_u32 v28, 0, v101, v32
	s_waitcnt vmcnt(6)
	ds_write_b128 v28, v[0:3]
	s_waitcnt vmcnt(5)
	ds_write_b128 v28, v[4:7] offset:1760
	s_waitcnt vmcnt(4)
	ds_write_b128 v28, v[8:11] offset:3520
	;; [unrolled: 2-line block ×6, first 2 shown]
.LBB0_13:
	s_or_b64 exec, exec, s[2:3]
	v_add_u32_e32 v97, 0, v101
	v_lshlrev_b32_e32 v99, 4, v48
	v_add_u32_e32 v98, v97, v99
	v_add_u32_e32 v102, 0, v99
	s_waitcnt lgkmcnt(0)
	s_barrier
	v_add_u32_e32 v100, v102, v101
	ds_read_b128 v[8:11], v98
	ds_read_b128 v[0:3], v100 offset:1120
	ds_read_b128 v[4:7], v100 offset:2240
	s_mov_b32 s20, 0xf8bb580b
	s_mov_b32 s21, 0xbfe14ced
	;; [unrolled: 1-line block ×3, first 2 shown]
	s_waitcnt lgkmcnt(1)
	v_add_f64 v[12:13], v[8:9], v[0:1]
	v_add_f64 v[14:15], v[10:11], v[2:3]
	s_mov_b32 s18, 0x8eee2c13
	s_mov_b32 s3, 0x3feaeb8c
	;; [unrolled: 1-line block ×6, first 2 shown]
	s_waitcnt lgkmcnt(0)
	v_add_f64 v[16:17], v[12:13], v[4:5]
	v_add_f64 v[18:19], v[14:15], v[6:7]
	ds_read_b128 v[12:15], v100 offset:3360
	s_mov_b32 s23, 0xbfefac9e
	s_mov_b32 s6, 0x640f44db
	s_mov_b32 s7, 0xbfc2375f
	s_mov_b32 s24, 0xbb3a28a1
	s_mov_b32 s25, 0xbfe82f19
	s_waitcnt lgkmcnt(0)
	v_add_f64 v[20:21], v[16:17], v[12:13]
	v_add_f64 v[22:23], v[18:19], v[14:15]
	ds_read_b128 v[16:19], v100 offset:4480
	s_mov_b32 s14, 0x7f775887
	s_mov_b32 s15, 0xbfe4f49e
	s_mov_b32 s28, 0xfd768dbf
	s_mov_b32 s29, 0xbfd207e7
	s_mov_b32 s16, 0x9bcd5057
	;; [unrolled: 9-line block ×3, first 2 shown]
	s_waitcnt lgkmcnt(0)
	v_add_f64 v[36:37], v[24:25], v[20:21]
	v_add_f64 v[38:39], v[26:27], v[22:23]
	ds_read_b128 v[24:27], v100 offset:6720
	ds_read_b128 v[28:31], v100 offset:7840
	;; [unrolled: 1-line block ×5, first 2 shown]
	s_waitcnt lgkmcnt(4)
	v_add_f64 v[49:50], v[20:21], v[24:25]
	s_waitcnt lgkmcnt(3)
	v_add_f64 v[53:54], v[16:17], v[28:29]
	v_add_f64 v[42:43], v[16:17], -v[28:29]
	v_add_f64 v[40:41], v[20:21], -v[24:25]
	s_waitcnt lgkmcnt(0)
	v_add_f64 v[103:104], v[2:3], -v[83:84]
	v_add_f64 v[57:58], v[36:37], v[24:25]
	v_add_f64 v[38:39], v[38:39], v[26:27]
	v_add_f64 v[89:90], v[12:13], -v[32:33]
	v_add_f64 v[93:94], v[0:1], -v[81:82]
	;; [unrolled: 1-line block ×3, first 2 shown]
	v_add_f64 v[67:68], v[0:1], v[81:82]
	v_add_f64 v[59:60], v[14:15], v[34:35]
	v_mul_f64 v[61:62], v[103:104], s[20:21]
	v_add_f64 v[16:17], v[57:58], v[28:29]
	v_add_f64 v[20:21], v[38:39], v[30:31]
	;; [unrolled: 1-line block ×3, first 2 shown]
	v_add_f64 v[95:96], v[14:15], -v[34:35]
	v_add_f64 v[91:92], v[4:5], -v[63:64]
	v_add_f64 v[71:72], v[2:3], v[83:84]
	v_mul_f64 v[69:70], v[93:94], s[20:21]
	v_add_f64 v[75:76], v[4:5], v[63:64]
	v_add_f64 v[12:13], v[16:17], v[32:33]
	;; [unrolled: 1-line block ×3, first 2 shown]
	v_fma_f64 v[4:5], v[67:68], s[2:3], v[61:62]
	v_add_f64 v[79:80], v[6:7], v[65:66]
	v_mul_f64 v[73:74], v[95:96], s[22:23]
	v_add_f64 v[38:39], v[18:19], -v[30:31]
	v_fma_f64 v[6:7], v[71:72], s[2:3], -v[69:70]
	v_mul_f64 v[77:78], v[89:90], s[22:23]
	v_add_f64 v[0:1], v[12:13], v[63:64]
	v_mul_f64 v[63:64], v[105:106], s[18:19]
	v_add_f64 v[2:3], v[14:15], v[65:66]
	;; [unrolled: 2-line block ×3, first 2 shown]
	v_add_f64 v[36:37], v[22:23], -v[26:27]
	v_add_f64 v[6:7], v[10:11], v[6:7]
	v_add_f64 v[55:56], v[18:19], v[30:31]
	;; [unrolled: 1-line block ×3, first 2 shown]
	v_fma_f64 v[12:13], v[75:76], s[8:9], v[63:64]
	v_mul_f64 v[81:82], v[38:39], s[24:25]
	v_fma_f64 v[14:15], v[79:80], s[8:9], -v[65:66]
	v_add_f64 v[2:3], v[2:3], v[83:84]
	v_mul_f64 v[83:84], v[42:43], s[24:25]
	v_mul_f64 v[85:86], v[36:37], s[28:29]
	v_add_f64 v[51:52], v[22:23], v[26:27]
	v_mul_f64 v[87:88], v[40:41], s[28:29]
	v_add_f64 v[4:5], v[12:13], v[4:5]
	v_fma_f64 v[12:13], v[57:58], s[6:7], v[73:74]
	v_add_f64 v[6:7], v[14:15], v[6:7]
	v_mul_f64 v[16:17], v[103:104], s[18:19]
	v_mul_f64 v[18:19], v[105:106], s[24:25]
	;; [unrolled: 1-line block ×4, first 2 shown]
	s_mov_b32 s39, 0x3fd207e7
	s_mov_b32 s38, s28
	v_add_f64 v[4:5], v[12:13], v[4:5]
	v_fma_f64 v[12:13], v[59:60], s[6:7], -v[77:78]
	s_mov_b32 s37, 0x3fefac9e
	v_fma_f64 v[14:15], v[75:76], s[14:15], v[18:19]
	v_fma_f64 v[18:19], v[75:76], s[14:15], -v[18:19]
	v_fma_f64 v[24:25], v[91:92], s[34:35], v[22:23]
	s_mov_b32 s36, s22
	s_mov_b32 s31, 0x3fe14ced
	;; [unrolled: 1-line block ×3, first 2 shown]
	v_add_f64 v[6:7], v[12:13], v[6:7]
	v_fma_f64 v[12:13], v[53:54], s[14:15], v[81:82]
	s_barrier
	v_add_f64 v[4:5], v[12:13], v[4:5]
	v_fma_f64 v[12:13], v[55:56], s[14:15], -v[83:84]
	v_add_f64 v[6:7], v[12:13], v[6:7]
	v_fma_f64 v[12:13], v[49:50], s[16:17], v[85:86]
	v_add_f64 v[4:5], v[12:13], v[4:5]
	v_fma_f64 v[12:13], v[51:52], s[16:17], -v[87:88]
	v_add_f64 v[6:7], v[12:13], v[6:7]
	v_fma_f64 v[12:13], v[67:68], s[8:9], v[16:17]
	v_fma_f64 v[16:17], v[67:68], s[8:9], -v[16:17]
	v_add_f64 v[12:13], v[8:9], v[12:13]
	v_add_f64 v[16:17], v[8:9], v[16:17]
	;; [unrolled: 1-line block ×3, first 2 shown]
	v_fma_f64 v[14:15], v[93:94], s[26:27], v[20:21]
	v_add_f64 v[16:17], v[18:19], v[16:17]
	v_fma_f64 v[18:19], v[93:94], s[18:19], v[20:21]
	v_fma_f64 v[20:21], v[91:92], s[24:25], v[22:23]
	v_add_f64 v[14:15], v[10:11], v[14:15]
	v_add_f64 v[18:19], v[10:11], v[18:19]
	;; [unrolled: 1-line block ×3, first 2 shown]
	v_mul_f64 v[24:25], v[95:96], s[38:39]
	v_add_f64 v[18:19], v[20:21], v[18:19]
	v_fma_f64 v[26:27], v[57:58], s[16:17], v[24:25]
	v_fma_f64 v[20:21], v[57:58], s[16:17], -v[24:25]
	v_mul_f64 v[24:25], v[103:104], s[22:23]
	v_add_f64 v[12:13], v[26:27], v[12:13]
	v_mul_f64 v[26:27], v[59:60], s[16:17]
	v_add_f64 v[16:17], v[20:21], v[16:17]
	v_fma_f64 v[28:29], v[89:90], s[28:29], v[26:27]
	v_fma_f64 v[20:21], v[89:90], s[38:39], v[26:27]
	v_mul_f64 v[26:27], v[105:106], s[38:39]
	v_add_f64 v[14:15], v[28:29], v[14:15]
	v_mul_f64 v[28:29], v[38:39], s[36:37]
	v_add_f64 v[18:19], v[20:21], v[18:19]
	v_fma_f64 v[30:31], v[53:54], s[6:7], v[28:29]
	v_fma_f64 v[20:21], v[53:54], s[6:7], -v[28:29]
	v_mul_f64 v[28:29], v[71:72], s[6:7]
	v_add_f64 v[12:13], v[30:31], v[12:13]
	v_mul_f64 v[30:31], v[55:56], s[6:7]
	v_add_f64 v[16:17], v[20:21], v[16:17]
	v_fma_f64 v[32:33], v[42:43], s[22:23], v[30:31]
	v_fma_f64 v[20:21], v[42:43], s[36:37], v[30:31]
	v_mul_f64 v[30:31], v[79:80], s[16:17]
	v_add_f64 v[14:15], v[32:33], v[14:15]
	v_mul_f64 v[32:33], v[36:37], s[30:31]
	v_add_f64 v[18:19], v[20:21], v[18:19]
	v_fma_f64 v[34:35], v[49:50], s[2:3], v[32:33]
	v_fma_f64 v[20:21], v[49:50], s[2:3], -v[32:33]
	v_fma_f64 v[32:33], v[91:92], s[28:29], v[30:31]
	v_add_f64 v[12:13], v[34:35], v[12:13]
	v_mul_f64 v[34:35], v[51:52], s[2:3]
	v_add_f64 v[16:17], v[20:21], v[16:17]
	v_fma_f64 v[20:21], v[67:68], s[6:7], v[24:25]
	v_fma_f64 v[24:25], v[67:68], s[6:7], -v[24:25]
	v_fma_f64 v[22:23], v[40:41], s[30:31], v[34:35]
	v_fma_f64 v[107:108], v[40:41], s[20:21], v[34:35]
	v_add_f64 v[20:21], v[8:9], v[20:21]
	v_add_f64 v[24:25], v[8:9], v[24:25]
	v_add_f64 v[18:19], v[22:23], v[18:19]
	v_fma_f64 v[22:23], v[75:76], s[16:17], v[26:27]
	v_add_f64 v[14:15], v[107:108], v[14:15]
	v_fma_f64 v[26:27], v[75:76], s[16:17], -v[26:27]
	v_add_f64 v[20:21], v[22:23], v[20:21]
	v_fma_f64 v[22:23], v[93:94], s[36:37], v[28:29]
	v_add_f64 v[24:25], v[26:27], v[24:25]
	v_fma_f64 v[26:27], v[93:94], s[22:23], v[28:29]
	v_fma_f64 v[28:29], v[91:92], s[38:39], v[30:31]
	v_add_f64 v[22:23], v[10:11], v[22:23]
	v_add_f64 v[26:27], v[10:11], v[26:27]
	;; [unrolled: 1-line block ×3, first 2 shown]
	v_mul_f64 v[32:33], v[95:96], s[26:27]
	v_add_f64 v[26:27], v[28:29], v[26:27]
	v_fma_f64 v[34:35], v[57:58], s[8:9], v[32:33]
	v_fma_f64 v[28:29], v[57:58], s[8:9], -v[32:33]
	v_mul_f64 v[32:33], v[103:104], s[24:25]
	v_mul_f64 v[103:104], v[103:104], s[28:29]
	v_add_f64 v[20:21], v[34:35], v[20:21]
	v_mul_f64 v[34:35], v[59:60], s[8:9]
	v_add_f64 v[24:25], v[28:29], v[24:25]
	v_fma_f64 v[107:108], v[89:90], s[18:19], v[34:35]
	v_fma_f64 v[28:29], v[89:90], s[26:27], v[34:35]
	v_mul_f64 v[34:35], v[105:106], s[36:37]
	v_mul_f64 v[105:106], v[105:106], s[30:31]
	v_add_f64 v[22:23], v[107:108], v[22:23]
	v_mul_f64 v[107:108], v[38:39], s[20:21]
	v_add_f64 v[26:27], v[28:29], v[26:27]
	v_fma_f64 v[109:110], v[53:54], s[2:3], v[107:108]
	v_fma_f64 v[28:29], v[53:54], s[2:3], -v[107:108]
	v_mul_f64 v[107:108], v[71:72], s[14:15]
	v_add_f64 v[20:21], v[109:110], v[20:21]
	v_mul_f64 v[109:110], v[55:56], s[2:3]
	v_add_f64 v[24:25], v[28:29], v[24:25]
	v_fma_f64 v[111:112], v[42:43], s[30:31], v[109:110]
	v_fma_f64 v[28:29], v[42:43], s[20:21], v[109:110]
	v_mul_f64 v[109:110], v[79:80], s[6:7]
	v_add_f64 v[22:23], v[111:112], v[22:23]
	v_mul_f64 v[111:112], v[36:37], s[24:25]
	v_add_f64 v[26:27], v[28:29], v[26:27]
	v_fma_f64 v[113:114], v[49:50], s[14:15], v[111:112]
	v_fma_f64 v[28:29], v[49:50], s[14:15], -v[111:112]
	v_fma_f64 v[111:112], v[91:92], s[22:23], v[109:110]
	v_add_f64 v[20:21], v[113:114], v[20:21]
	v_mul_f64 v[113:114], v[51:52], s[14:15]
	v_add_f64 v[24:25], v[28:29], v[24:25]
	v_fma_f64 v[28:29], v[67:68], s[14:15], v[32:33]
	v_fma_f64 v[32:33], v[67:68], s[14:15], -v[32:33]
	v_fma_f64 v[30:31], v[40:41], s[24:25], v[113:114]
	v_fma_f64 v[115:116], v[40:41], s[34:35], v[113:114]
	v_add_f64 v[28:29], v[8:9], v[28:29]
	v_add_f64 v[32:33], v[8:9], v[32:33]
	;; [unrolled: 1-line block ×3, first 2 shown]
	v_fma_f64 v[30:31], v[75:76], s[6:7], v[34:35]
	v_add_f64 v[22:23], v[115:116], v[22:23]
	v_fma_f64 v[34:35], v[75:76], s[6:7], -v[34:35]
	v_add_f64 v[28:29], v[30:31], v[28:29]
	v_fma_f64 v[30:31], v[93:94], s[34:35], v[107:108]
	v_add_f64 v[32:33], v[34:35], v[32:33]
	v_fma_f64 v[34:35], v[93:94], s[24:25], v[107:108]
	v_fma_f64 v[107:108], v[91:92], s[36:37], v[109:110]
	v_add_f64 v[30:31], v[10:11], v[30:31]
	v_add_f64 v[34:35], v[10:11], v[34:35]
	;; [unrolled: 1-line block ×3, first 2 shown]
	v_mul_f64 v[111:112], v[95:96], s[20:21]
	v_add_f64 v[34:35], v[107:108], v[34:35]
	v_mul_f64 v[95:96], v[95:96], s[24:25]
	v_fma_f64 v[113:114], v[57:58], s[2:3], v[111:112]
	v_fma_f64 v[107:108], v[57:58], s[2:3], -v[111:112]
	v_add_f64 v[28:29], v[113:114], v[28:29]
	v_mul_f64 v[113:114], v[59:60], s[2:3]
	v_add_f64 v[32:33], v[107:108], v[32:33]
	v_fma_f64 v[115:116], v[89:90], s[30:31], v[113:114]
	v_fma_f64 v[107:108], v[89:90], s[20:21], v[113:114]
	v_mul_f64 v[113:114], v[79:80], s[2:3]
	v_add_f64 v[30:31], v[115:116], v[30:31]
	v_mul_f64 v[115:116], v[38:39], s[28:29]
	v_add_f64 v[34:35], v[107:108], v[34:35]
	v_fma_f64 v[117:118], v[53:54], s[16:17], v[115:116]
	v_fma_f64 v[107:108], v[53:54], s[16:17], -v[115:116]
	v_fma_f64 v[115:116], v[91:92], s[20:21], v[113:114]
	v_fma_f64 v[91:92], v[91:92], s[30:31], v[113:114]
	v_add_f64 v[28:29], v[117:118], v[28:29]
	v_mul_f64 v[117:118], v[55:56], s[16:17]
	v_add_f64 v[32:33], v[107:108], v[32:33]
	v_fma_f64 v[119:120], v[42:43], s[38:39], v[117:118]
	v_fma_f64 v[107:108], v[42:43], s[28:29], v[117:118]
	v_add_f64 v[30:31], v[119:120], v[30:31]
	v_mul_f64 v[119:120], v[36:37], s[26:27]
	v_add_f64 v[34:35], v[107:108], v[34:35]
	v_fma_f64 v[121:122], v[49:50], s[8:9], v[119:120]
	v_fma_f64 v[107:108], v[49:50], s[8:9], -v[119:120]
	v_add_f64 v[28:29], v[121:122], v[28:29]
	v_mul_f64 v[121:122], v[51:52], s[8:9]
	v_add_f64 v[32:33], v[107:108], v[32:33]
	v_fma_f64 v[107:108], v[67:68], s[16:17], v[103:104]
	v_fma_f64 v[103:104], v[67:68], s[16:17], -v[103:104]
	v_fma_f64 v[109:110], v[40:41], s[26:27], v[121:122]
	v_fma_f64 v[123:124], v[40:41], s[18:19], v[121:122]
	v_add_f64 v[107:108], v[8:9], v[107:108]
	v_add_f64 v[103:104], v[8:9], v[103:104]
	v_mul_f64 v[121:122], v[51:52], s[6:7]
	v_add_f64 v[34:35], v[109:110], v[34:35]
	v_fma_f64 v[109:110], v[75:76], s[2:3], v[105:106]
	v_fma_f64 v[105:106], v[75:76], s[2:3], -v[105:106]
	v_add_f64 v[30:31], v[123:124], v[30:31]
	v_add_f64 v[107:108], v[109:110], v[107:108]
	v_mul_f64 v[109:110], v[71:72], s[16:17]
	v_add_f64 v[103:104], v[105:106], v[103:104]
	v_fma_f64 v[111:112], v[93:94], s[38:39], v[109:110]
	v_fma_f64 v[93:94], v[93:94], s[28:29], v[109:110]
	v_add_f64 v[111:112], v[10:11], v[111:112]
	v_add_f64 v[93:94], v[10:11], v[93:94]
	;; [unrolled: 1-line block ×3, first 2 shown]
	v_fma_f64 v[115:116], v[57:58], s[14:15], v[95:96]
	v_add_f64 v[91:92], v[91:92], v[93:94]
	v_fma_f64 v[93:94], v[57:58], s[14:15], -v[95:96]
	v_add_f64 v[107:108], v[115:116], v[107:108]
	v_mul_f64 v[115:116], v[59:60], s[14:15]
	v_add_f64 v[93:94], v[93:94], v[103:104]
	v_fma_f64 v[117:118], v[89:90], s[34:35], v[115:116]
	v_fma_f64 v[89:90], v[89:90], s[24:25], v[115:116]
	v_add_f64 v[111:112], v[117:118], v[111:112]
	v_mul_f64 v[117:118], v[38:39], s[26:27]
	v_add_f64 v[89:90], v[89:90], v[91:92]
	v_fma_f64 v[38:39], v[53:54], s[8:9], v[117:118]
	v_fma_f64 v[91:92], v[53:54], s[8:9], -v[117:118]
	v_add_f64 v[38:39], v[38:39], v[107:108]
	v_mul_f64 v[107:108], v[55:56], s[8:9]
	v_add_f64 v[91:92], v[91:92], v[93:94]
	v_fma_f64 v[119:120], v[42:43], s[18:19], v[107:108]
	v_fma_f64 v[42:43], v[42:43], s[26:27], v[107:108]
	s_movk_i32 s18, 0x46
	v_cmp_gt_u32_e32 vcc, s18, v48
	v_add_f64 v[111:112], v[119:120], v[111:112]
	v_mul_f64 v[119:120], v[36:37], s[22:23]
	v_add_f64 v[42:43], v[42:43], v[89:90]
	v_fma_f64 v[89:90], v[40:41], s[22:23], v[121:122]
	v_fma_f64 v[36:37], v[49:50], s[6:7], v[119:120]
	v_add_f64 v[42:43], v[89:90], v[42:43]
	v_add_f64 v[36:37], v[36:37], v[38:39]
	v_fma_f64 v[38:39], v[40:41], s[36:37], v[121:122]
	v_fma_f64 v[40:41], v[49:50], s[6:7], -v[119:120]
	v_add_f64 v[38:39], v[38:39], v[111:112]
	v_add_f64 v[40:41], v[40:41], v[91:92]
	s_and_saveexec_b64 s[18:19], vcc
	s_cbranch_execz .LBB0_15
; %bb.14:
	v_mul_f64 v[71:72], v[71:72], s[2:3]
	v_mul_f64 v[67:68], v[67:68], s[2:3]
	;; [unrolled: 1-line block ×8, first 2 shown]
	v_add_f64 v[69:70], v[69:70], v[71:72]
	v_add_f64 v[61:62], v[67:68], -v[61:62]
	v_add_f64 v[65:66], v[65:66], v[79:80]
	v_add_f64 v[63:64], v[75:76], -v[63:64]
	v_add_f64 v[57:58], v[57:58], -v[73:74]
	v_add_f64 v[59:60], v[77:78], v[59:60]
	v_mul_f64 v[49:50], v[49:50], s[16:17]
	v_mul_f64 v[51:52], v[51:52], s[16:17]
	v_add_f64 v[10:11], v[10:11], v[69:70]
	v_add_f64 v[8:9], v[8:9], v[61:62]
	v_add_f64 v[55:56], v[83:84], v[55:56]
	v_add_f64 v[53:54], v[53:54], -v[81:82]
	v_add_f64 v[49:50], v[49:50], -v[85:86]
	v_add_f64 v[51:52], v[87:88], v[51:52]
	v_add_f64 v[10:11], v[65:66], v[10:11]
	;; [unrolled: 1-line block ×7, first 2 shown]
	v_mul_u32_u24_e32 v53, 0xa0, v48
	v_add3_u32 v53, v102, v53, v101
	ds_write_b128 v53, v[0:3]
	ds_write_b128 v53, v[4:7] offset:16
	v_add_f64 v[10:11], v[51:52], v[10:11]
	v_add_f64 v[8:9], v[49:50], v[8:9]
	ds_write_b128 v53, v[12:15] offset:32
	ds_write_b128 v53, v[20:23] offset:48
	;; [unrolled: 1-line block ×9, first 2 shown]
.LBB0_15:
	s_or_b64 exec, exec, s[18:19]
	s_movk_i32 s2, 0x4d
	v_cmp_gt_u32_e32 vcc, s2, v48
	s_waitcnt lgkmcnt(0)
	s_barrier
	s_and_saveexec_b64 s[2:3], vcc
	s_cbranch_execz .LBB0_17
; %bb.16:
	ds_read_b128 v[0:3], v98
	ds_read_b128 v[4:7], v100 offset:1232
	ds_read_b128 v[12:15], v100 offset:2464
	;; [unrolled: 1-line block ×9, first 2 shown]
.LBB0_17:
	s_or_b64 exec, exec, s[2:3]
	s_waitcnt lgkmcnt(0)
	s_barrier
	s_and_saveexec_b64 s[2:3], vcc
	s_cbranch_execz .LBB0_19
; %bb.18:
	s_movk_i32 s6, 0x75
	v_mul_lo_u16_sdwa v8, v48, s6 dst_sel:DWORD dst_unused:UNUSED_PAD src0_sel:BYTE_0 src1_sel:DWORD
	v_sub_u16_sdwa v9, v48, v8 dst_sel:DWORD dst_unused:UNUSED_PAD src0_sel:DWORD src1_sel:BYTE_1
	v_lshrrev_b16_e32 v9, 1, v9
	v_and_b32_e32 v9, 0x7f, v9
	v_add_u16_sdwa v8, v9, v8 dst_sel:DWORD dst_unused:UNUSED_PAD src0_sel:DWORD src1_sel:BYTE_1
	v_lshrrev_b16_e32 v8, 3, v8
	v_mul_lo_u16_e32 v9, 11, v8
	v_sub_u16_e32 v9, v48, v9
	v_mov_b32_e32 v10, 9
	v_mul_u32_u24_sdwa v10, v9, v10 dst_sel:DWORD dst_unused:UNUSED_PAD src0_sel:BYTE_0 src1_sel:DWORD
	v_lshlrev_b32_e32 v10, 4, v10
	global_load_dwordx4 v[49:52], v10, s[12:13] offset:16
	global_load_dwordx4 v[53:56], v10, s[12:13] offset:48
	;; [unrolled: 1-line block ×8, first 2 shown]
	global_load_dwordx4 v[81:84], v10, s[12:13]
	s_mov_b32 s6, 0x134454ff
	s_mov_b32 s7, 0xbfee6f0e
	;; [unrolled: 1-line block ×16, first 2 shown]
	s_waitcnt vmcnt(8)
	v_mul_f64 v[10:11], v[12:13], v[51:52]
	s_waitcnt vmcnt(7)
	v_mul_f64 v[85:86], v[28:29], v[55:56]
	s_waitcnt vmcnt(6)
	v_mul_f64 v[87:88], v[24:25], v[59:60]
	s_waitcnt vmcnt(5)
	v_mul_f64 v[89:90], v[40:41], v[63:64]
	s_waitcnt vmcnt(4)
	v_mul_f64 v[91:92], v[22:23], v[67:68]
	s_waitcnt vmcnt(3)
	v_mul_f64 v[93:94], v[38:39], v[71:72]
	s_waitcnt vmcnt(2)
	v_mul_f64 v[95:96], v[18:19], v[75:76]
	s_waitcnt vmcnt(1)
	v_mul_f64 v[102:103], v[34:35], v[79:80]
	v_mul_f64 v[71:72], v[36:37], v[71:72]
	v_mul_f64 v[79:80], v[32:33], v[79:80]
	;; [unrolled: 1-line block ×6, first 2 shown]
	s_waitcnt vmcnt(0)
	v_mul_f64 v[104:105], v[6:7], v[83:84]
	v_mul_f64 v[67:68], v[20:21], v[67:68]
	;; [unrolled: 1-line block ×4, first 2 shown]
	v_fma_f64 v[10:11], v[14:15], v[49:50], -v[10:11]
	v_fma_f64 v[14:15], v[30:31], v[53:54], -v[85:86]
	;; [unrolled: 1-line block ×4, first 2 shown]
	v_fma_f64 v[20:21], v[20:21], v[65:66], v[91:92]
	v_fma_f64 v[36:37], v[36:37], v[69:70], v[93:94]
	;; [unrolled: 1-line block ×4, first 2 shown]
	v_fma_f64 v[38:39], v[38:39], v[69:70], -v[71:72]
	v_fma_f64 v[34:35], v[34:35], v[77:78], -v[79:80]
	v_fma_f64 v[12:13], v[12:13], v[49:50], v[51:52]
	v_fma_f64 v[24:25], v[24:25], v[57:58], v[59:60]
	;; [unrolled: 1-line block ×5, first 2 shown]
	v_fma_f64 v[22:23], v[22:23], v[65:66], -v[67:68]
	v_fma_f64 v[18:19], v[18:19], v[73:74], -v[75:76]
	;; [unrolled: 1-line block ×3, first 2 shown]
	v_add_f64 v[42:43], v[10:11], -v[14:15]
	v_add_f64 v[49:50], v[26:27], -v[30:31]
	v_add_f64 v[51:52], v[14:15], v[30:31]
	v_add_f64 v[57:58], v[20:21], -v[36:37]
	v_add_f64 v[59:60], v[16:17], -v[32:33]
	v_add_f64 v[63:64], v[36:37], v[32:33]
	v_add_f64 v[71:72], v[38:39], v[34:35]
	;; [unrolled: 1-line block ×3, first 2 shown]
	v_add_f64 v[55:56], v[28:29], -v[40:41]
	v_add_f64 v[67:68], v[22:23], -v[38:39]
	v_add_f64 v[69:70], v[18:19], -v[34:35]
	v_add_f64 v[73:74], v[20:21], -v[16:17]
	v_add_f64 v[83:84], v[36:37], -v[20:21]
	v_add_f64 v[85:86], v[32:33], -v[16:17]
	v_add_f64 v[87:88], v[20:21], v[16:17]
	v_add_f64 v[93:94], v[22:23], v[18:19]
	;; [unrolled: 1-line block ×4, first 2 shown]
	v_fma_f64 v[49:50], v[51:52], -0.5, v[2:3]
	v_add_f64 v[51:52], v[57:58], v[59:60]
	v_fma_f64 v[57:58], v[63:64], -0.5, v[4:5]
	v_fma_f64 v[63:64], v[71:72], -0.5, v[6:7]
	;; [unrolled: 1-line block ×3, first 2 shown]
	v_add_f64 v[53:54], v[12:13], -v[24:25]
	v_add_f64 v[65:66], v[22:23], -v[18:19]
	v_add_f64 v[75:76], v[36:37], -v[32:33]
	v_add_f64 v[77:78], v[14:15], -v[10:11]
	v_add_f64 v[79:80], v[30:31], -v[26:27]
	v_add_f64 v[89:90], v[38:39], -v[22:23]
	v_add_f64 v[22:23], v[6:7], v[22:23]
	v_add_f64 v[59:60], v[67:68], v[69:70]
	;; [unrolled: 1-line block ×3, first 2 shown]
	v_fma_f64 v[71:72], v[87:88], -0.5, v[4:5]
	v_fma_f64 v[6:7], v[93:94], -0.5, v[6:7]
	v_fma_f64 v[83:84], v[73:74], s[6:7], v[63:64]
	v_fma_f64 v[87:88], v[55:56], s[18:19], v[2:3]
	;; [unrolled: 1-line block ×4, first 2 shown]
	v_add_f64 v[61:62], v[38:39], -v[34:35]
	v_add_f64 v[91:92], v[34:35], -v[18:19]
	;; [unrolled: 1-line block ×3, first 2 shown]
	v_add_f64 v[67:68], v[77:78], v[79:80]
	v_add_f64 v[14:15], v[95:96], v[14:15]
	v_fma_f64 v[79:80], v[53:54], s[6:7], v[49:50]
	v_fma_f64 v[81:82], v[65:66], s[18:19], v[57:58]
	;; [unrolled: 1-line block ×9, first 2 shown]
	v_add_f64 v[108:109], v[28:29], v[40:41]
	v_add_f64 v[77:78], v[89:90], v[91:92]
	v_fma_f64 v[89:90], v[61:62], s[6:7], v[71:72]
	v_fma_f64 v[71:72], v[61:62], s[18:19], v[71:72]
	v_add_f64 v[14:15], v[14:15], v[30:31]
	v_fma_f64 v[30:31], v[55:56], s[14:15], v[79:80]
	v_fma_f64 v[79:80], v[61:62], s[16:17], v[81:82]
	;; [unrolled: 1-line block ×5, first 2 shown]
	v_add_f64 v[22:23], v[22:23], v[38:39]
	v_fma_f64 v[83:84], v[75:76], s[14:15], v[83:84]
	v_add_f64 v[10:11], v[10:11], -v[26:27]
	v_add_f64 v[110:111], v[12:13], v[24:25]
	v_fma_f64 v[38:39], v[108:109], -0.5, v[0:1]
	v_fma_f64 v[81:82], v[65:66], s[16:17], v[89:90]
	v_fma_f64 v[63:64], v[51:52], s[8:9], v[79:80]
	;; [unrolled: 1-line block ×6, first 2 shown]
	v_mul_f64 v[57:58], v[53:54], s[24:25]
	v_fma_f64 v[83:84], v[59:60], s[8:9], v[83:84]
	v_add_f64 v[22:23], v[22:23], v[34:35]
	v_fma_f64 v[85:86], v[73:74], s[14:15], v[85:86]
	v_fma_f64 v[73:74], v[69:70], s[8:9], v[81:82]
	;; [unrolled: 1-line block ×4, first 2 shown]
	v_mul_f64 v[65:66], v[61:62], s[8:9]
	v_fma_f64 v[69:70], v[10:11], s[18:19], v[38:39]
	v_fma_f64 v[42:43], v[42:43], s[8:9], v[49:50]
	;; [unrolled: 1-line block ×3, first 2 shown]
	v_fma_f64 v[57:58], v[110:111], -0.5, v[0:1]
	v_add_f64 v[0:1], v[0:1], v[12:13]
	v_add_f64 v[4:5], v[4:5], v[20:21]
	;; [unrolled: 1-line block ×3, first 2 shown]
	v_mul_f64 v[18:19], v[83:84], s[14:15]
	v_add_f64 v[102:103], v[12:13], -v[28:29]
	v_fma_f64 v[85:86], v[77:78], s[8:9], v[85:86]
	v_fma_f64 v[34:35], v[55:56], s[18:19], v[65:66]
	;; [unrolled: 1-line block ×3, first 2 shown]
	v_add_f64 v[69:70], v[28:29], -v[12:13]
	v_add_f64 v[77:78], v[40:41], -v[24:25]
	v_fma_f64 v[12:13], v[106:107], s[6:7], v[57:58]
	v_fma_f64 v[20:21], v[106:107], s[18:19], v[57:58]
	v_add_f64 v[0:1], v[0:1], v[28:29]
	v_add_f64 v[4:5], v[4:5], v[36:37]
	v_add_f64 v[104:105], v[24:25], -v[40:41]
	v_fma_f64 v[57:58], v[63:64], s[20:21], v[18:19]
	v_fma_f64 v[18:19], v[10:11], s[6:7], v[38:39]
	v_mul_f64 v[75:76], v[83:84], s[20:21]
	v_mul_f64 v[79:80], v[85:86], s[22:23]
	v_add_f64 v[38:39], v[69:70], v[77:78]
	v_fma_f64 v[12:13], v[10:11], s[16:17], v[12:13]
	v_mul_f64 v[28:29], v[85:86], s[6:7]
	v_fma_f64 v[10:11], v[10:11], s[14:15], v[20:21]
	v_add_f64 v[0:1], v[0:1], v[40:41]
	v_add_f64 v[4:5], v[4:5], v[32:33]
	;; [unrolled: 1-line block ×4, first 2 shown]
	v_fma_f64 v[18:19], v[106:107], s[14:15], v[18:19]
	v_mul_f64 v[36:37], v[53:54], s[14:15]
	v_mul_f64 v[20:21], v[61:62], s[6:7]
	v_fma_f64 v[71:72], v[63:64], s[16:17], v[75:76]
	v_fma_f64 v[75:76], v[73:74], s[18:19], v[79:80]
	;; [unrolled: 1-line block ×5, first 2 shown]
	v_add_f64 v[38:39], v[0:1], v[24:25]
	v_add_f64 v[73:74], v[4:5], v[16:17]
	v_fma_f64 v[59:60], v[67:68], s[8:9], v[87:88]
	v_fma_f64 v[67:68], v[67:68], s[8:9], v[2:3]
	;; [unrolled: 1-line block ×6, first 2 shown]
	v_add_f64 v[40:41], v[26:27], v[22:23]
	v_add_f64 v[18:19], v[38:39], -v[73:74]
	v_add_f64 v[38:39], v[38:39], v[73:74]
	v_add_f64 v[12:13], v[67:68], -v[34:35]
	v_add_f64 v[32:33], v[67:68], v[34:35]
	v_add_f64 v[36:37], v[42:43], v[49:50]
	;; [unrolled: 1-line block ×3, first 2 shown]
	v_add_f64 v[2:3], v[30:31], -v[71:72]
	v_add_f64 v[24:25], v[30:31], v[71:72]
	v_add_f64 v[30:31], v[63:64], v[55:56]
	v_add_f64 v[20:21], v[26:27], -v[22:23]
	v_add_f64 v[28:29], v[59:60], v[75:76]
	v_add_f64 v[26:27], v[53:54], v[61:62]
	;; [unrolled: 1-line block ×3, first 2 shown]
	v_add_f64 v[16:17], v[42:43], -v[49:50]
	s_movk_i32 s6, 0x6e0
	v_mov_b32_e32 v42, 4
	v_add_f64 v[14:15], v[69:70], -v[51:52]
	v_mad_u32_u24 v8, v8, s6, 0
	v_lshlrev_b32_sdwa v9, v42, v9 dst_sel:DWORD dst_unused:UNUSED_PAD src0_sel:DWORD src1_sel:BYTE_0
	v_add_f64 v[10:11], v[63:64], -v[55:56]
	v_add3_u32 v8, v8, v9, v101
	v_add_f64 v[6:7], v[59:60], -v[75:76]
	v_add_f64 v[0:1], v[65:66], -v[57:58]
	;; [unrolled: 1-line block ×3, first 2 shown]
	ds_write_b128 v8, v[38:41]
	ds_write_b128 v8, v[34:37] offset:176
	ds_write_b128 v8, v[30:33] offset:352
	;; [unrolled: 1-line block ×9, first 2 shown]
.LBB0_19:
	s_or_b64 exec, exec, s[2:3]
	v_mul_u32_u24_e32 v0, 6, v48
	v_lshlrev_b32_e32 v24, 4, v0
	s_load_dwordx2 s[2:3], s[4:5], 0x0
	s_waitcnt lgkmcnt(0)
	s_barrier
	global_load_dwordx4 v[0:3], v24, s[12:13] offset:1584
	global_load_dwordx4 v[4:7], v24, s[12:13] offset:1600
	;; [unrolled: 1-line block ×6, first 2 shown]
	ds_read_b128 v[24:27], v98
	ds_read_b128 v[28:31], v100 offset:1760
	ds_read_b128 v[32:35], v100 offset:3520
	;; [unrolled: 1-line block ×6, first 2 shown]
	s_mov_b32 s6, 0x37e14327
	s_mov_b32 s4, 0x36b3c0b5
	;; [unrolled: 1-line block ×16, first 2 shown]
	s_waitcnt vmcnt(0) lgkmcnt(0)
	s_barrier
	v_cmp_ne_u32_e32 vcc, 0, v48
	v_mul_f64 v[57:58], v[30:31], v[2:3]
	v_mul_f64 v[2:3], v[28:29], v[2:3]
	;; [unrolled: 1-line block ×12, first 2 shown]
	v_fma_f64 v[28:29], v[28:29], v[0:1], v[57:58]
	v_fma_f64 v[0:1], v[30:31], v[0:1], -v[2:3]
	v_fma_f64 v[2:3], v[32:33], v[4:5], v[59:60]
	v_fma_f64 v[4:5], v[34:35], v[4:5], -v[6:7]
	;; [unrolled: 2-line block ×6, first 2 shown]
	v_add_f64 v[14:15], v[28:29], v[6:7]
	v_add_f64 v[30:31], v[0:1], v[16:17]
	v_add_f64 v[6:7], v[28:29], -v[6:7]
	v_add_f64 v[0:1], v[0:1], -v[16:17]
	v_add_f64 v[16:17], v[2:3], v[10:11]
	v_add_f64 v[28:29], v[4:5], v[20:21]
	v_add_f64 v[2:3], v[2:3], -v[10:11]
	v_add_f64 v[4:5], v[4:5], -v[20:21]
	;; [unrolled: 4-line block ×4, first 2 shown]
	v_add_f64 v[14:15], v[14:15], -v[10:11]
	v_add_f64 v[30:31], v[30:31], -v[20:21]
	;; [unrolled: 1-line block ×4, first 2 shown]
	v_add_f64 v[36:37], v[18:19], v[2:3]
	v_add_f64 v[38:39], v[8:9], v[4:5]
	v_add_f64 v[40:41], v[18:19], -v[2:3]
	v_add_f64 v[42:43], v[8:9], -v[4:5]
	v_add_f64 v[10:11], v[10:11], v[12:13]
	v_add_f64 v[12:13], v[20:21], v[22:23]
	v_add_f64 v[49:50], v[2:3], -v[6:7]
	v_add_f64 v[4:5], v[4:5], -v[0:1]
	;; [unrolled: 1-line block ×4, first 2 shown]
	v_add_f64 v[6:7], v[36:37], v[6:7]
	v_add_f64 v[20:21], v[38:39], v[0:1]
	v_mul_f64 v[14:15], v[14:15], s[6:7]
	v_mul_f64 v[22:23], v[30:31], s[6:7]
	v_mul_f64 v[30:31], v[16:17], s[4:5]
	v_mul_f64 v[36:37], v[28:29], s[4:5]
	v_mul_f64 v[38:39], v[40:41], s[16:17]
	v_mul_f64 v[40:41], v[42:43], s[16:17]
	v_add_f64 v[0:1], v[24:25], v[10:11]
	v_add_f64 v[2:3], v[26:27], v[12:13]
	v_mul_f64 v[42:43], v[49:50], s[8:9]
	v_mul_f64 v[51:52], v[4:5], s[8:9]
	v_fma_f64 v[16:17], v[16:17], s[4:5], v[14:15]
	v_fma_f64 v[24:25], v[28:29], s[4:5], v[22:23]
	v_fma_f64 v[26:27], v[32:33], s[18:19], -v[30:31]
	v_fma_f64 v[28:29], v[34:35], s[18:19], -v[36:37]
	s_mov_b32 s19, 0xbfe77f67
	v_fma_f64 v[30:31], v[18:19], s[20:21], v[38:39]
	v_fma_f64 v[36:37], v[8:9], s[20:21], v[40:41]
	s_mov_b32 s21, 0x3fd5d0dc
	v_fma_f64 v[10:11], v[10:11], s[14:15], v[0:1]
	v_fma_f64 v[12:13], v[12:13], s[14:15], v[2:3]
	v_fma_f64 v[38:39], v[49:50], s[8:9], -v[38:39]
	v_fma_f64 v[4:5], v[4:5], s[8:9], -v[40:41]
	;; [unrolled: 1-line block ×6, first 2 shown]
	v_fma_f64 v[30:31], v[6:7], s[22:23], v[30:31]
	v_fma_f64 v[32:33], v[20:21], s[22:23], v[36:37]
	v_add_f64 v[40:41], v[16:17], v[10:11]
	v_add_f64 v[42:43], v[24:25], v[12:13]
	v_fma_f64 v[34:35], v[6:7], s[22:23], v[38:39]
	v_fma_f64 v[36:37], v[20:21], s[22:23], v[4:5]
	;; [unrolled: 1-line block ×4, first 2 shown]
	v_add_f64 v[24:25], v[14:15], v[10:11]
	v_add_f64 v[22:23], v[22:23], v[12:13]
	v_add_f64 v[16:17], v[26:27], v[10:11]
	v_add_f64 v[18:19], v[28:29], v[12:13]
	v_add_f64 v[4:5], v[32:33], v[40:41]
	v_add_f64 v[6:7], v[42:43], -v[30:31]
	v_add_f64 v[26:27], v[30:31], v[42:43]
	s_add_u32 s6, s12, 0x2f70
	v_add_f64 v[8:9], v[20:21], v[24:25]
	v_add_f64 v[10:11], v[22:23], -v[38:39]
	v_add_f64 v[12:13], v[16:17], -v[36:37]
	v_add_f64 v[14:15], v[34:35], v[18:19]
	v_add_f64 v[16:17], v[36:37], v[16:17]
	v_add_f64 v[18:19], v[18:19], -v[34:35]
	v_add_f64 v[20:21], v[24:25], -v[20:21]
	v_add_f64 v[22:23], v[38:39], v[22:23]
	v_add_f64 v[24:25], v[40:41], -v[32:33]
	ds_write_b128 v100, v[0:3]
	ds_write_b128 v100, v[4:7] offset:1760
	ds_write_b128 v100, v[8:11] offset:3520
	ds_write_b128 v100, v[12:15] offset:5280
	ds_write_b128 v100, v[16:19] offset:7040
	ds_write_b128 v100, v[20:23] offset:8800
	ds_write_b128 v100, v[24:27] offset:10560
	s_waitcnt lgkmcnt(0)
	s_barrier
	ds_read_b128 v[4:7], v98
	s_addc_u32 s7, s13, 0
	v_sub_u32_e32 v12, v97, v99
                                        ; implicit-def: $vgpr2_vgpr3
                                        ; implicit-def: $vgpr8_vgpr9
                                        ; implicit-def: $vgpr10_vgpr11
	s_and_saveexec_b64 s[4:5], vcc
	s_xor_b64 s[4:5], exec, s[4:5]
	s_cbranch_execz .LBB0_21
; %bb.20:
	v_mov_b32_e32 v49, 0
	v_lshlrev_b64 v[0:1], 4, v[48:49]
	v_mov_b32_e32 v2, s7
	v_add_co_u32_e32 v0, vcc, s6, v0
	v_addc_co_u32_e32 v1, vcc, v2, v1, vcc
	global_load_dwordx4 v[0:3], v[0:1], off
	ds_read_b128 v[8:11], v12 offset:12320
	s_waitcnt lgkmcnt(0)
	v_add_f64 v[13:14], v[4:5], -v[8:9]
	v_add_f64 v[15:16], v[6:7], v[10:11]
	v_add_f64 v[6:7], v[6:7], -v[10:11]
	v_add_f64 v[4:5], v[4:5], v[8:9]
	v_mul_f64 v[10:11], v[13:14], 0.5
	v_mul_f64 v[13:14], v[15:16], 0.5
	;; [unrolled: 1-line block ×3, first 2 shown]
	s_waitcnt vmcnt(0)
	v_mul_f64 v[8:9], v[10:11], v[2:3]
	v_fma_f64 v[15:16], v[13:14], v[2:3], v[6:7]
	v_fma_f64 v[2:3], v[13:14], v[2:3], -v[6:7]
	v_fma_f64 v[17:18], v[4:5], 0.5, v[8:9]
	v_fma_f64 v[4:5], v[4:5], 0.5, -v[8:9]
	v_fma_f64 v[8:9], -v[0:1], v[10:11], v[15:16]
	v_fma_f64 v[2:3], -v[0:1], v[10:11], v[2:3]
	v_mov_b32_e32 v10, v48
	v_mov_b32_e32 v11, v49
	v_fma_f64 v[6:7], v[13:14], v[0:1], v[17:18]
	v_fma_f64 v[0:1], -v[13:14], v[0:1], v[4:5]
                                        ; implicit-def: $vgpr4_vgpr5
	ds_write_b64 v98, v[6:7]
.LBB0_21:
	s_andn2_saveexec_b64 s[4:5], s[4:5]
	s_cbranch_execz .LBB0_23
; %bb.22:
	s_waitcnt lgkmcnt(0)
	v_add_f64 v[2:3], v[4:5], v[6:7]
	ds_read_b64 v[13:14], v97 offset:6168
	v_add_f64 v[0:1], v[4:5], -v[6:7]
	v_mov_b32_e32 v8, 0
	v_mov_b32_e32 v10, 0
	;; [unrolled: 1-line block ×3, first 2 shown]
	s_waitcnt lgkmcnt(0)
	v_xor_b32_e32 v14, 0x80000000, v14
	ds_write_b64 v97, v[13:14] offset:6168
	ds_write_b64 v98, v[2:3]
	v_mov_b32_e32 v2, v8
	v_mov_b32_e32 v11, 0
	;; [unrolled: 1-line block ×3, first 2 shown]
.LBB0_23:
	s_or_b64 exec, exec, s[4:5]
	s_waitcnt lgkmcnt(0)
	v_lshlrev_b64 v[4:5], 4, v[10:11]
	v_mov_b32_e32 v6, s7
	v_add_co_u32_e32 v4, vcc, s6, v4
	v_addc_co_u32_e32 v5, vcc, v6, v5, vcc
	global_load_dwordx4 v[13:16], v[4:5], off offset:1760
	global_load_dwordx4 v[17:20], v[4:5], off offset:3520
	ds_write_b64 v98, v[8:9] offset:8
	ds_write_b128 v12, v[0:3] offset:12320
	ds_read_b128 v[0:3], v98 offset:1760
	ds_read_b128 v[6:9], v12 offset:10560
	v_cmp_gt_u32_e32 vcc, 55, v48
	s_waitcnt lgkmcnt(0)
	v_add_f64 v[10:11], v[0:1], -v[6:7]
	v_add_f64 v[21:22], v[2:3], v[8:9]
	v_add_f64 v[2:3], v[2:3], -v[8:9]
	v_add_f64 v[0:1], v[0:1], v[6:7]
	v_mul_f64 v[8:9], v[10:11], 0.5
	v_mul_f64 v[10:11], v[21:22], 0.5
	;; [unrolled: 1-line block ×3, first 2 shown]
	s_waitcnt vmcnt(1)
	v_mul_f64 v[6:7], v[8:9], v[15:16]
	v_fma_f64 v[21:22], v[10:11], v[15:16], v[2:3]
	v_fma_f64 v[15:16], v[10:11], v[15:16], -v[2:3]
	v_fma_f64 v[23:24], v[0:1], 0.5, v[6:7]
	v_fma_f64 v[6:7], v[0:1], 0.5, -v[6:7]
	v_fma_f64 v[2:3], -v[13:14], v[8:9], v[21:22]
	v_fma_f64 v[8:9], -v[13:14], v[8:9], v[15:16]
	v_fma_f64 v[0:1], v[10:11], v[13:14], v[23:24]
	v_fma_f64 v[6:7], -v[10:11], v[13:14], v[6:7]
	ds_write_b128 v98, v[0:3] offset:1760
	ds_write_b128 v12, v[6:9] offset:10560
	ds_read_b128 v[0:3], v98 offset:3520
	ds_read_b128 v[6:9], v12 offset:8800
	s_waitcnt lgkmcnt(0)
	v_add_f64 v[10:11], v[0:1], -v[6:7]
	v_add_f64 v[13:14], v[2:3], v[8:9]
	v_add_f64 v[2:3], v[2:3], -v[8:9]
	v_add_f64 v[0:1], v[0:1], v[6:7]
	v_mul_f64 v[8:9], v[10:11], 0.5
	v_mul_f64 v[10:11], v[13:14], 0.5
	;; [unrolled: 1-line block ×3, first 2 shown]
	s_waitcnt vmcnt(0)
	v_mul_f64 v[6:7], v[8:9], v[19:20]
	v_fma_f64 v[13:14], v[10:11], v[19:20], v[2:3]
	v_fma_f64 v[15:16], v[10:11], v[19:20], -v[2:3]
	v_fma_f64 v[19:20], v[0:1], 0.5, v[6:7]
	v_fma_f64 v[6:7], v[0:1], 0.5, -v[6:7]
	v_fma_f64 v[2:3], -v[17:18], v[8:9], v[13:14]
	v_fma_f64 v[8:9], -v[17:18], v[8:9], v[15:16]
	v_fma_f64 v[0:1], v[10:11], v[17:18], v[19:20]
	v_fma_f64 v[6:7], -v[10:11], v[17:18], v[6:7]
	ds_write_b128 v98, v[0:3] offset:3520
	ds_write_b128 v12, v[6:9] offset:8800
	s_and_saveexec_b64 s[4:5], vcc
	s_cbranch_execz .LBB0_25
; %bb.24:
	s_movk_i32 s6, 0x1000
	v_add_co_u32_e32 v0, vcc, s6, v4
	v_addc_co_u32_e32 v1, vcc, 0, v5, vcc
	global_load_dwordx4 v[0:3], v[0:1], off offset:1184
	ds_read_b128 v[4:7], v98 offset:5280
	ds_read_b128 v[8:11], v12 offset:7040
	s_waitcnt lgkmcnt(0)
	v_add_f64 v[13:14], v[4:5], -v[8:9]
	v_add_f64 v[15:16], v[6:7], v[10:11]
	v_add_f64 v[6:7], v[6:7], -v[10:11]
	v_add_f64 v[4:5], v[4:5], v[8:9]
	v_mul_f64 v[10:11], v[13:14], 0.5
	v_mul_f64 v[13:14], v[15:16], 0.5
	;; [unrolled: 1-line block ×3, first 2 shown]
	s_waitcnt vmcnt(0)
	v_mul_f64 v[8:9], v[10:11], v[2:3]
	v_fma_f64 v[15:16], v[13:14], v[2:3], v[6:7]
	v_fma_f64 v[2:3], v[13:14], v[2:3], -v[6:7]
	v_fma_f64 v[6:7], v[4:5], 0.5, v[8:9]
	v_fma_f64 v[17:18], v[4:5], 0.5, -v[8:9]
	v_fma_f64 v[4:5], -v[0:1], v[10:11], v[15:16]
	v_fma_f64 v[8:9], -v[0:1], v[10:11], v[2:3]
	v_fma_f64 v[2:3], v[13:14], v[0:1], v[6:7]
	v_fma_f64 v[6:7], -v[13:14], v[0:1], v[17:18]
	ds_write_b128 v98, v[2:5] offset:5280
	ds_write_b128 v12, v[6:9] offset:7040
.LBB0_25:
	s_or_b64 exec, exec, s[4:5]
	s_waitcnt lgkmcnt(0)
	s_barrier
	s_and_saveexec_b64 s[4:5], s[0:1]
	s_cbranch_execz .LBB0_28
; %bb.26:
	v_mul_lo_u32 v0, s3, v46
	v_mul_lo_u32 v3, s2, v47
	v_mad_u64_u32 v[1:2], s[0:1], s2, v46, 0
	v_mov_b32_e32 v7, s11
	v_mov_b32_e32 v49, 0
	v_add3_u32 v2, v2, v3, v0
	v_lshlrev_b64 v[1:2], 4, v[1:2]
	v_lshl_add_u32 v0, v48, 4, v97
	v_add_co_u32_e32 v1, vcc, s10, v1
	v_addc_co_u32_e32 v9, vcc, v7, v2, vcc
	v_lshlrev_b64 v[7:8], 4, v[44:45]
	ds_read_b128 v[3:6], v0
	v_add_co_u32_e32 v2, vcc, v1, v7
	v_addc_co_u32_e32 v1, vcc, v9, v8, vcc
	v_lshlrev_b64 v[7:8], 4, v[48:49]
	s_movk_i32 s0, 0x6d
	v_add_co_u32_e32 v11, vcc, v2, v7
	v_addc_co_u32_e32 v12, vcc, v1, v8, vcc
	ds_read_b128 v[7:10], v0 offset:1760
	s_waitcnt lgkmcnt(1)
	global_store_dwordx4 v[11:12], v[3:6], off
	s_nop 0
	v_add_u32_e32 v3, 0x6e, v48
	v_mov_b32_e32 v4, v49
	v_lshlrev_b64 v[3:4], 4, v[3:4]
	v_add_co_u32_e32 v3, vcc, v2, v3
	v_addc_co_u32_e32 v4, vcc, v1, v4, vcc
	s_waitcnt lgkmcnt(0)
	global_store_dwordx4 v[3:4], v[7:10], off
	ds_read_b128 v[3:6], v0 offset:3520
	v_add_u32_e32 v7, 0xdc, v48
	v_mov_b32_e32 v8, v49
	v_lshlrev_b64 v[7:8], 4, v[7:8]
	v_add_co_u32_e32 v11, vcc, v2, v7
	v_addc_co_u32_e32 v12, vcc, v1, v8, vcc
	ds_read_b128 v[7:10], v0 offset:5280
	s_waitcnt lgkmcnt(1)
	global_store_dwordx4 v[11:12], v[3:6], off
	s_nop 0
	v_add_u32_e32 v3, 0x14a, v48
	v_mov_b32_e32 v4, v49
	v_lshlrev_b64 v[3:4], 4, v[3:4]
	v_add_co_u32_e32 v3, vcc, v2, v3
	v_addc_co_u32_e32 v4, vcc, v1, v4, vcc
	s_waitcnt lgkmcnt(0)
	global_store_dwordx4 v[3:4], v[7:10], off
	ds_read_b128 v[3:6], v0 offset:7040
	v_add_u32_e32 v7, 0x1b8, v48
	v_mov_b32_e32 v8, v49
	v_lshlrev_b64 v[7:8], 4, v[7:8]
	;; [unrolled: 17-line block ×3, first 2 shown]
	v_add_co_u32_e32 v7, vcc, v2, v7
	v_addc_co_u32_e32 v8, vcc, v1, v8, vcc
	v_cmp_eq_u32_e32 vcc, s0, v48
	s_waitcnt lgkmcnt(0)
	global_store_dwordx4 v[7:8], v[3:6], off
	s_and_b64 exec, exec, vcc
	s_cbranch_execz .LBB0_28
; %bb.27:
	ds_read_b128 v[3:6], v0 offset:10576
	v_add_co_u32_e32 v0, vcc, 0x3000, v2
	v_addc_co_u32_e32 v1, vcc, 0, v1, vcc
	s_waitcnt lgkmcnt(0)
	global_store_dwordx4 v[0:1], v[3:6], off offset:32
.LBB0_28:
	s_endpgm
	.section	.rodata,"a",@progbits
	.p2align	6, 0x0
	.amdhsa_kernel fft_rtc_back_len770_factors_11_10_7_wgs_220_tpt_110_dp_op_CI_CI_unitstride_sbrr_R2C_dirReg
		.amdhsa_group_segment_fixed_size 0
		.amdhsa_private_segment_fixed_size 0
		.amdhsa_kernarg_size 104
		.amdhsa_user_sgpr_count 6
		.amdhsa_user_sgpr_private_segment_buffer 1
		.amdhsa_user_sgpr_dispatch_ptr 0
		.amdhsa_user_sgpr_queue_ptr 0
		.amdhsa_user_sgpr_kernarg_segment_ptr 1
		.amdhsa_user_sgpr_dispatch_id 0
		.amdhsa_user_sgpr_flat_scratch_init 0
		.amdhsa_user_sgpr_private_segment_size 0
		.amdhsa_uses_dynamic_stack 0
		.amdhsa_system_sgpr_private_segment_wavefront_offset 0
		.amdhsa_system_sgpr_workgroup_id_x 1
		.amdhsa_system_sgpr_workgroup_id_y 0
		.amdhsa_system_sgpr_workgroup_id_z 0
		.amdhsa_system_sgpr_workgroup_info 0
		.amdhsa_system_vgpr_workitem_id 0
		.amdhsa_next_free_vgpr 125
		.amdhsa_next_free_sgpr 40
		.amdhsa_reserve_vcc 1
		.amdhsa_reserve_flat_scratch 0
		.amdhsa_float_round_mode_32 0
		.amdhsa_float_round_mode_16_64 0
		.amdhsa_float_denorm_mode_32 3
		.amdhsa_float_denorm_mode_16_64 3
		.amdhsa_dx10_clamp 1
		.amdhsa_ieee_mode 1
		.amdhsa_fp16_overflow 0
		.amdhsa_exception_fp_ieee_invalid_op 0
		.amdhsa_exception_fp_denorm_src 0
		.amdhsa_exception_fp_ieee_div_zero 0
		.amdhsa_exception_fp_ieee_overflow 0
		.amdhsa_exception_fp_ieee_underflow 0
		.amdhsa_exception_fp_ieee_inexact 0
		.amdhsa_exception_int_div_zero 0
	.end_amdhsa_kernel
	.text
.Lfunc_end0:
	.size	fft_rtc_back_len770_factors_11_10_7_wgs_220_tpt_110_dp_op_CI_CI_unitstride_sbrr_R2C_dirReg, .Lfunc_end0-fft_rtc_back_len770_factors_11_10_7_wgs_220_tpt_110_dp_op_CI_CI_unitstride_sbrr_R2C_dirReg
                                        ; -- End function
	.section	.AMDGPU.csdata,"",@progbits
; Kernel info:
; codeLenInByte = 8980
; NumSgprs: 44
; NumVgprs: 125
; ScratchSize: 0
; MemoryBound: 0
; FloatMode: 240
; IeeeMode: 1
; LDSByteSize: 0 bytes/workgroup (compile time only)
; SGPRBlocks: 5
; VGPRBlocks: 31
; NumSGPRsForWavesPerEU: 44
; NumVGPRsForWavesPerEU: 125
; Occupancy: 2
; WaveLimiterHint : 1
; COMPUTE_PGM_RSRC2:SCRATCH_EN: 0
; COMPUTE_PGM_RSRC2:USER_SGPR: 6
; COMPUTE_PGM_RSRC2:TRAP_HANDLER: 0
; COMPUTE_PGM_RSRC2:TGID_X_EN: 1
; COMPUTE_PGM_RSRC2:TGID_Y_EN: 0
; COMPUTE_PGM_RSRC2:TGID_Z_EN: 0
; COMPUTE_PGM_RSRC2:TIDIG_COMP_CNT: 0
	.type	__hip_cuid_c1f84b8ed7f1853a,@object ; @__hip_cuid_c1f84b8ed7f1853a
	.section	.bss,"aw",@nobits
	.globl	__hip_cuid_c1f84b8ed7f1853a
__hip_cuid_c1f84b8ed7f1853a:
	.byte	0                               ; 0x0
	.size	__hip_cuid_c1f84b8ed7f1853a, 1

	.ident	"AMD clang version 19.0.0git (https://github.com/RadeonOpenCompute/llvm-project roc-6.4.0 25133 c7fe45cf4b819c5991fe208aaa96edf142730f1d)"
	.section	".note.GNU-stack","",@progbits
	.addrsig
	.addrsig_sym __hip_cuid_c1f84b8ed7f1853a
	.amdgpu_metadata
---
amdhsa.kernels:
  - .args:
      - .actual_access:  read_only
        .address_space:  global
        .offset:         0
        .size:           8
        .value_kind:     global_buffer
      - .offset:         8
        .size:           8
        .value_kind:     by_value
      - .actual_access:  read_only
        .address_space:  global
        .offset:         16
        .size:           8
        .value_kind:     global_buffer
      - .actual_access:  read_only
        .address_space:  global
        .offset:         24
        .size:           8
        .value_kind:     global_buffer
      - .actual_access:  read_only
        .address_space:  global
        .offset:         32
        .size:           8
        .value_kind:     global_buffer
      - .offset:         40
        .size:           8
        .value_kind:     by_value
      - .actual_access:  read_only
        .address_space:  global
        .offset:         48
        .size:           8
        .value_kind:     global_buffer
      - .actual_access:  read_only
        .address_space:  global
        .offset:         56
        .size:           8
        .value_kind:     global_buffer
      - .offset:         64
        .size:           4
        .value_kind:     by_value
      - .actual_access:  read_only
        .address_space:  global
        .offset:         72
        .size:           8
        .value_kind:     global_buffer
      - .actual_access:  read_only
        .address_space:  global
        .offset:         80
        .size:           8
        .value_kind:     global_buffer
      - .actual_access:  read_only
        .address_space:  global
        .offset:         88
        .size:           8
        .value_kind:     global_buffer
      - .actual_access:  write_only
        .address_space:  global
        .offset:         96
        .size:           8
        .value_kind:     global_buffer
    .group_segment_fixed_size: 0
    .kernarg_segment_align: 8
    .kernarg_segment_size: 104
    .language:       OpenCL C
    .language_version:
      - 2
      - 0
    .max_flat_workgroup_size: 220
    .name:           fft_rtc_back_len770_factors_11_10_7_wgs_220_tpt_110_dp_op_CI_CI_unitstride_sbrr_R2C_dirReg
    .private_segment_fixed_size: 0
    .sgpr_count:     44
    .sgpr_spill_count: 0
    .symbol:         fft_rtc_back_len770_factors_11_10_7_wgs_220_tpt_110_dp_op_CI_CI_unitstride_sbrr_R2C_dirReg.kd
    .uniform_work_group_size: 1
    .uses_dynamic_stack: false
    .vgpr_count:     125
    .vgpr_spill_count: 0
    .wavefront_size: 64
amdhsa.target:   amdgcn-amd-amdhsa--gfx906
amdhsa.version:
  - 1
  - 2
...

	.end_amdgpu_metadata
